;; amdgpu-corpus repo=ROCm/rocFFT kind=compiled arch=gfx950 opt=O3
	.text
	.amdgcn_target "amdgcn-amd-amdhsa--gfx950"
	.amdhsa_code_object_version 6
	.protected	fft_rtc_back_len50_factors_10_5_wgs_250_tpt_10_dp_op_CI_CI_sbcc_dirReg_intrinsicReadWrite ; -- Begin function fft_rtc_back_len50_factors_10_5_wgs_250_tpt_10_dp_op_CI_CI_sbcc_dirReg_intrinsicReadWrite
	.globl	fft_rtc_back_len50_factors_10_5_wgs_250_tpt_10_dp_op_CI_CI_sbcc_dirReg_intrinsicReadWrite
	.p2align	8
	.type	fft_rtc_back_len50_factors_10_5_wgs_250_tpt_10_dp_op_CI_CI_sbcc_dirReg_intrinsicReadWrite,@function
fft_rtc_back_len50_factors_10_5_wgs_250_tpt_10_dp_op_CI_CI_sbcc_dirReg_intrinsicReadWrite: ; @fft_rtc_back_len50_factors_10_5_wgs_250_tpt_10_dp_op_CI_CI_sbcc_dirReg_intrinsicReadWrite
; %bb.0:
	s_load_dwordx4 s[16:19], s[0:1], 0x18
	s_load_dwordx2 s[26:27], s[0:1], 0x28
	s_mov_b32 s3, 0
	s_mov_b64 s[20:21], 0
	s_waitcnt lgkmcnt(0)
	s_load_dwordx2 s[24:25], s[16:17], 0x8
	s_waitcnt lgkmcnt(0)
	s_add_u32 s4, s24, -1
	s_addc_u32 s5, s25, -1
	s_add_u32 s6, 0, 0xd7093700
	s_addc_u32 s7, 0, 51
	s_mul_hi_u32 s9, s6, 0xffffffe7
	s_add_i32 s7, s7, 0xa3d7070
	s_sub_i32 s9, s9, s6
	s_mul_i32 s12, s7, 0xffffffe7
	s_mul_i32 s8, s6, 0xffffffe7
	s_add_i32 s9, s9, s12
	s_mul_hi_u32 s10, s7, s8
	s_mul_i32 s11, s7, s8
	s_mul_i32 s13, s6, s9
	s_mul_hi_u32 s8, s6, s8
	s_mul_hi_u32 s12, s6, s9
	s_add_u32 s8, s8, s13
	s_addc_u32 s12, 0, s12
	s_add_u32 s8, s8, s11
	s_mul_hi_u32 s13, s7, s9
	s_addc_u32 s8, s12, s10
	s_addc_u32 s10, s13, 0
	s_mul_i32 s9, s7, s9
	s_add_u32 s8, s8, s9
	v_mov_b32_e32 v1, s8
	s_addc_u32 s9, 0, s10
	v_add_co_u32_e32 v1, vcc, s6, v1
	s_cmp_lg_u64 vcc, 0
	s_addc_u32 s6, s7, s9
	v_readfirstlane_b32 s9, v1
	s_mul_i32 s8, s4, s6
	s_mul_hi_u32 s10, s4, s9
	s_mul_hi_u32 s7, s4, s6
	s_add_u32 s8, s10, s8
	s_addc_u32 s7, 0, s7
	s_mul_hi_u32 s11, s5, s9
	s_mul_i32 s9, s5, s9
	s_add_u32 s8, s8, s9
	s_mul_hi_u32 s10, s5, s6
	s_addc_u32 s7, s7, s11
	s_addc_u32 s8, s10, 0
	s_mul_i32 s6, s5, s6
	s_add_u32 s6, s7, s6
	s_addc_u32 s7, 0, s8
	s_add_u32 s8, s6, 1
	s_addc_u32 s9, s7, 0
	s_add_u32 s10, s6, 2
	s_mul_i32 s12, s7, 25
	s_mul_hi_u32 s13, s6, 25
	s_addc_u32 s11, s7, 0
	s_add_i32 s13, s13, s12
	s_mul_i32 s12, s6, 25
	v_mov_b32_e32 v1, s12
	v_sub_co_u32_e32 v1, vcc, s4, v1
	s_cmp_lg_u64 vcc, 0
	s_subb_u32 s4, s5, s13
	v_subrev_co_u32_e32 v2, vcc, 25, v1
	s_cmp_lg_u64 vcc, 0
	s_subb_u32 s5, s4, 0
	v_readfirstlane_b32 s12, v2
	s_cmp_gt_u32 s12, 24
	s_cselect_b32 s12, -1, 0
	s_cmp_eq_u32 s5, 0
	s_cselect_b32 s5, s12, -1
	s_cmp_lg_u32 s5, 0
	s_cselect_b32 s5, s10, s8
	s_cselect_b32 s8, s11, s9
	v_readfirstlane_b32 s9, v1
	s_cmp_gt_u32 s9, 24
	s_cselect_b32 s9, -1, 0
	s_cmp_eq_u32 s4, 0
	s_cselect_b32 s4, s9, -1
	s_cmp_lg_u32 s4, 0
	s_cselect_b32 s5, s5, s6
	s_cselect_b32 s4, s8, s7
	s_add_u32 s28, s5, 1
	s_addc_u32 s29, s4, 0
	v_mov_b64_e32 v[2:3], s[28:29]
	v_cmp_lt_u64_e32 vcc, s[2:3], v[2:3]
	s_cbranch_vccnz .LBB0_2
; %bb.1:
	v_cvt_f32_u32_e32 v1, s28
	s_sub_i32 s4, 0, s28
	s_mov_b32 s21, s3
	v_rcp_iflag_f32_e32 v1, v1
	s_nop 0
	v_mul_f32_e32 v1, 0x4f7ffffe, v1
	v_cvt_u32_f32_e32 v1, v1
	s_nop 0
	v_readfirstlane_b32 s5, v1
	s_mul_i32 s4, s4, s5
	s_mul_hi_u32 s4, s5, s4
	s_add_i32 s5, s5, s4
	s_mul_hi_u32 s4, s2, s5
	s_mul_i32 s6, s4, s28
	s_sub_i32 s6, s2, s6
	s_add_i32 s5, s4, 1
	s_sub_i32 s7, s6, s28
	s_cmp_ge_u32 s6, s28
	s_cselect_b32 s4, s5, s4
	s_cselect_b32 s6, s7, s6
	s_add_i32 s5, s4, 1
	s_cmp_ge_u32 s6, s28
	s_cselect_b32 s20, s5, s4
.LBB0_2:
	s_load_dwordx4 s[4:7], s[0:1], 0x60
	s_load_dwordx4 s[12:15], s[18:19], 0x0
	;; [unrolled: 1-line block ×3, first 2 shown]
	s_load_dwordx2 s[22:23], s[0:1], 0x0
	s_load_dwordx2 s[34:35], s[0:1], 0x10
	s_mul_i32 s0, s20, s29
	s_mul_hi_u32 s1, s20, s28
	s_add_i32 s1, s1, s0
	s_mul_i32 s0, s20, s28
	s_sub_u32 s0, s2, s0
	s_subb_u32 s1, 0, s1
	s_mul_i32 s1, s1, 25
	s_waitcnt lgkmcnt(0)
	s_mul_hi_u32 s9, s0, 25
	s_add_i32 s31, s9, s1
	s_mul_i32 s30, s0, 25
	s_mul_i32 s0, s14, s31
	s_mul_hi_u32 s1, s14, s30
	s_add_i32 s0, s1, s0
	s_mul_i32 s1, s15, s30
	s_add_i32 s15, s0, s1
	s_mul_i32 s0, s10, s31
	s_mul_hi_u32 s1, s10, s30
	s_add_i32 s0, s1, s0
	s_mul_i32 s1, s11, s30
	s_add_i32 s11, s0, s1
	v_cmp_lt_u64_e64 s[0:1], s[34:35], 3
	s_mul_i32 s13, s14, s30
	s_mul_i32 s9, s10, s30
	s_and_b64 vcc, exec, s[0:1]
	s_cbranch_vccnz .LBB0_12
; %bb.3:
	s_add_u32 s36, s26, 16
	s_addc_u32 s37, s27, 0
	s_add_u32 s38, s18, 16
	s_addc_u32 s39, s19, 0
	;; [unrolled: 2-line block ×3, first 2 shown]
	s_mov_b64 s[40:41], 2
	s_mov_b32 s42, 0
	v_mov_b64_e32 v[2:3], s[34:35]
.LBB0_4:                                ; =>This Inner Loop Header: Depth=1
	s_load_dwordx2 s[44:45], s[16:17], 0x0
	s_waitcnt lgkmcnt(0)
	s_or_b64 s[0:1], s[20:21], s[44:45]
	s_mov_b32 s43, s1
	s_cmp_lg_u64 s[42:43], 0
	s_cbranch_scc0 .LBB0_9
; %bb.5:                                ;   in Loop: Header=BB0_4 Depth=1
	v_cvt_f32_u32_e32 v1, s44
	v_cvt_f32_u32_e32 v4, s45
	s_sub_u32 s0, 0, s44
	s_subb_u32 s1, 0, s45
	v_fmac_f32_e32 v1, 0x4f800000, v4
	v_rcp_f32_e32 v1, v1
	s_nop 0
	v_mul_f32_e32 v1, 0x5f7ffffc, v1
	v_mul_f32_e32 v4, 0x2f800000, v1
	v_trunc_f32_e32 v4, v4
	v_fmac_f32_e32 v1, 0xcf800000, v4
	v_cvt_u32_f32_e32 v4, v4
	v_cvt_u32_f32_e32 v1, v1
	v_readfirstlane_b32 s33, v4
	v_readfirstlane_b32 s43, v1
	s_mul_i32 s46, s0, s33
	s_mul_hi_u32 s48, s0, s43
	s_mul_i32 s47, s1, s43
	s_add_i32 s46, s48, s46
	s_mul_i32 s49, s0, s43
	s_add_i32 s46, s46, s47
	s_mul_hi_u32 s47, s43, s46
	s_mul_i32 s48, s43, s46
	s_mul_hi_u32 s43, s43, s49
	s_add_u32 s43, s43, s48
	s_addc_u32 s47, 0, s47
	s_mul_hi_u32 s50, s33, s49
	s_mul_i32 s49, s33, s49
	s_add_u32 s43, s43, s49
	s_mul_hi_u32 s48, s33, s46
	s_addc_u32 s43, s47, s50
	s_addc_u32 s47, s48, 0
	s_mul_i32 s46, s33, s46
	s_add_u32 s43, s43, s46
	s_addc_u32 s46, 0, s47
	v_add_co_u32_e32 v1, vcc, s43, v1
	s_cmp_lg_u64 vcc, 0
	s_addc_u32 s33, s33, s46
	v_readfirstlane_b32 s46, v1
	s_mul_i32 s43, s0, s33
	s_mul_hi_u32 s47, s0, s46
	s_add_i32 s43, s47, s43
	s_mul_i32 s1, s1, s46
	s_add_i32 s43, s43, s1
	s_mul_i32 s0, s0, s46
	s_mul_hi_u32 s47, s33, s0
	s_mul_i32 s48, s33, s0
	s_mul_i32 s50, s46, s43
	s_mul_hi_u32 s0, s46, s0
	s_mul_hi_u32 s49, s46, s43
	s_add_u32 s0, s0, s50
	s_addc_u32 s46, 0, s49
	s_add_u32 s0, s0, s48
	s_mul_hi_u32 s1, s33, s43
	s_addc_u32 s0, s46, s47
	s_addc_u32 s1, s1, 0
	s_mul_i32 s43, s33, s43
	s_add_u32 s0, s0, s43
	s_addc_u32 s1, 0, s1
	v_add_co_u32_e32 v1, vcc, s0, v1
	s_cmp_lg_u64 vcc, 0
	s_addc_u32 s0, s33, s1
	v_readfirstlane_b32 s43, v1
	s_mul_i32 s33, s20, s0
	s_mul_hi_u32 s46, s20, s43
	s_mul_hi_u32 s1, s20, s0
	s_add_u32 s33, s46, s33
	s_addc_u32 s1, 0, s1
	s_mul_hi_u32 s47, s21, s43
	s_mul_i32 s43, s21, s43
	s_add_u32 s33, s33, s43
	s_mul_hi_u32 s46, s21, s0
	s_addc_u32 s1, s1, s47
	s_addc_u32 s33, s46, 0
	s_mul_i32 s0, s21, s0
	s_add_u32 s43, s1, s0
	s_addc_u32 s33, 0, s33
	s_mul_i32 s0, s44, s33
	s_mul_hi_u32 s1, s44, s43
	s_add_i32 s0, s1, s0
	s_mul_i32 s1, s45, s43
	s_add_i32 s46, s0, s1
	s_mul_i32 s1, s44, s43
	v_mov_b32_e32 v1, s1
	s_sub_i32 s0, s21, s46
	v_sub_co_u32_e32 v1, vcc, s20, v1
	s_cmp_lg_u64 vcc, 0
	s_subb_u32 s47, s0, s45
	v_subrev_co_u32_e64 v4, s[0:1], s44, v1
	s_cmp_lg_u64 s[0:1], 0
	s_subb_u32 s0, s47, 0
	s_cmp_ge_u32 s0, s45
	v_readfirstlane_b32 s47, v4
	s_cselect_b32 s1, -1, 0
	s_cmp_ge_u32 s47, s44
	s_cselect_b32 s47, -1, 0
	s_cmp_eq_u32 s0, s45
	s_cselect_b32 s0, s47, s1
	s_add_u32 s1, s43, 1
	s_addc_u32 s47, s33, 0
	s_add_u32 s48, s43, 2
	s_addc_u32 s49, s33, 0
	s_cmp_lg_u32 s0, 0
	s_cselect_b32 s0, s48, s1
	s_cselect_b32 s1, s49, s47
	s_cmp_lg_u64 vcc, 0
	s_subb_u32 s46, s21, s46
	s_cmp_ge_u32 s46, s45
	v_readfirstlane_b32 s48, v1
	s_cselect_b32 s47, -1, 0
	s_cmp_ge_u32 s48, s44
	s_cselect_b32 s48, -1, 0
	s_cmp_eq_u32 s46, s45
	s_cselect_b32 s46, s48, s47
	s_cmp_lg_u32 s46, 0
	s_cselect_b32 s1, s1, s33
	s_cselect_b32 s0, s0, s43
	s_cbranch_execnz .LBB0_7
.LBB0_6:                                ;   in Loop: Header=BB0_4 Depth=1
	v_cvt_f32_u32_e32 v1, s44
	s_sub_i32 s0, 0, s44
	v_rcp_iflag_f32_e32 v1, v1
	s_nop 0
	v_mul_f32_e32 v1, 0x4f7ffffe, v1
	v_cvt_u32_f32_e32 v1, v1
	s_nop 0
	v_readfirstlane_b32 s1, v1
	s_mul_i32 s0, s0, s1
	s_mul_hi_u32 s0, s1, s0
	s_add_i32 s1, s1, s0
	s_mul_hi_u32 s0, s20, s1
	s_mul_i32 s33, s0, s44
	s_sub_i32 s33, s20, s33
	s_add_i32 s1, s0, 1
	s_sub_i32 s43, s33, s44
	s_cmp_ge_u32 s33, s44
	s_cselect_b32 s0, s1, s0
	s_cselect_b32 s33, s43, s33
	s_add_i32 s1, s0, 1
	s_cmp_ge_u32 s33, s44
	s_cselect_b32 s0, s1, s0
	s_mov_b32 s1, s42
.LBB0_7:                                ;   in Loop: Header=BB0_4 Depth=1
	s_mul_i32 s29, s44, s29
	s_mul_hi_u32 s33, s44, s28
	s_add_i32 s29, s33, s29
	s_mul_i32 s33, s45, s28
	s_add_i32 s29, s29, s33
	s_mul_i32 s33, s0, s45
	s_mul_hi_u32 s43, s0, s44
	s_load_dwordx2 s[46:47], s[38:39], 0x0
	s_add_i32 s33, s43, s33
	s_mul_i32 s43, s1, s44
	s_add_i32 s33, s33, s43
	s_mul_i32 s43, s0, s44
	s_sub_u32 s43, s20, s43
	s_subb_u32 s33, s21, s33
	s_waitcnt lgkmcnt(0)
	s_mul_i32 s20, s46, s33
	s_mul_hi_u32 s21, s46, s43
	s_mul_i32 s28, s44, s28
	s_add_i32 s44, s21, s20
	s_load_dwordx2 s[20:21], s[36:37], 0x0
	s_mul_i32 s45, s47, s43
	s_add_i32 s44, s44, s45
	s_mul_i32 s45, s46, s43
	s_add_u32 s13, s45, s13
	s_addc_u32 s15, s44, s15
	s_waitcnt lgkmcnt(0)
	s_mul_i32 s33, s20, s33
	s_mul_hi_u32 s44, s20, s43
	s_add_i32 s33, s44, s33
	s_mul_i32 s21, s21, s43
	s_add_i32 s33, s33, s21
	s_mul_i32 s20, s20, s43
	s_add_u32 s9, s20, s9
	s_addc_u32 s11, s33, s11
	s_add_u32 s40, s40, 1
	s_addc_u32 s41, s41, 0
	;; [unrolled: 2-line block ×4, first 2 shown]
	s_add_u32 s16, s16, 8
	v_cmp_ge_u64_e32 vcc, s[40:41], v[2:3]
	s_addc_u32 s17, s17, 0
	s_cbranch_vccnz .LBB0_10
; %bb.8:                                ;   in Loop: Header=BB0_4 Depth=1
	s_mov_b64 s[20:21], s[0:1]
	s_branch .LBB0_4
.LBB0_9:                                ;   in Loop: Header=BB0_4 Depth=1
                                        ; implicit-def: $sgpr0_sgpr1
	s_branch .LBB0_6
.LBB0_10:
	v_mov_b64_e32 v[2:3], s[28:29]
	v_cmp_lt_u64_e32 vcc, s[2:3], v[2:3]
	s_mov_b64 s[20:21], 0
	s_cbranch_vccnz .LBB0_12
; %bb.11:
	v_cvt_f32_u32_e32 v1, s28
	s_sub_i32 s0, 0, s28
	v_rcp_iflag_f32_e32 v1, v1
	s_nop 0
	v_mul_f32_e32 v1, 0x4f7ffffe, v1
	v_cvt_u32_f32_e32 v1, v1
	s_nop 0
	v_readfirstlane_b32 s1, v1
	s_mul_i32 s0, s0, s1
	s_mul_hi_u32 s0, s1, s0
	s_add_i32 s1, s1, s0
	s_mul_hi_u32 s0, s2, s1
	s_mul_i32 s3, s0, s28
	s_sub_i32 s2, s2, s3
	s_add_i32 s1, s0, 1
	s_sub_i32 s3, s2, s28
	s_cmp_ge_u32 s2, s28
	s_cselect_b32 s0, s1, s0
	s_cselect_b32 s2, s3, s2
	s_add_i32 s1, s0, 1
	s_cmp_ge_u32 s2, s28
	s_cselect_b32 s20, s1, s0
.LBB0_12:
	s_lshl_b64 s[0:1], s[34:35], 3
	s_add_u32 s2, s18, s0
	s_addc_u32 s3, s19, s1
	s_load_dwordx2 s[2:3], s[2:3], 0x0
	v_mul_u32_u24_e32 v1, 0xa3e, v0
	v_lshrrev_b32_e32 v1, 16, v1
	v_mul_lo_u16_e32 v2, 25, v1
	v_sub_u16_e32 v42, v0, v2
	s_waitcnt lgkmcnt(0)
	s_mul_i32 s2, s2, s20
	s_add_u32 s11, s2, s13
	s_add_u32 s16, s26, s0
	s_addc_u32 s17, s27, s1
	s_add_u32 s0, s30, 25
	s_addc_u32 s1, s31, 0
	v_mov_b64_e32 v[2:3], s[24:25]
	v_cmp_le_u64_e32 vcc, s[0:1], v[2:3]
	v_mad_u64_u32 v[44:45], s[0:1], s14, v42, 0
	v_mov_b32_e32 v43, 0
	s_movk_i32 s0, 0x7d
	s_movk_i32 s1, 0x7c
	v_cmp_lt_u32_e64 s[2:3], s1, v0
	v_lshl_add_u64 v[2:3], s[30:31], 0, v[42:43]
	v_cmp_gt_u32_e64 s[0:1], s0, v0
	s_or_b64 s[2:3], s[2:3], vcc
	v_mov_b64_e32 v[12:13], 0
	v_cndmask_b32_e64 v4, 0, 1, s[0:1]
	v_cmp_gt_u64_e64 s[0:1], s[24:25], v[2:3]
	s_nop 1
	v_cndmask_b32_e64 v2, 0, 1, s[0:1]
	v_cndmask_b32_e64 v2, v2, v4, s[2:3]
	v_and_b32_e32 v2, 1, v2
	v_cmp_eq_u32_e64 s[2:3], 1, v2
	v_mov_b64_e32 v[4:5], v[12:13]
	v_mov_b64_e32 v[2:3], v[12:13]
	s_and_saveexec_b64 s[14:15], s[2:3]
	s_cbranch_execz .LBB0_14
; %bb.13:
	v_mul_lo_u32 v2, s12, v1
	v_add3_u32 v2, s11, v44, v2
	v_mov_b32_e32 v3, v43
	v_lshl_add_u64 v[2:3], v[2:3], 4, s[4:5]
	global_load_dwordx4 v[2:5], v[2:3], off
.LBB0_14:
	s_or_b64 exec, exec, s[14:15]
	v_mov_b64_e32 v[10:11], v[12:13]
	s_and_saveexec_b64 s[14:15], s[2:3]
	s_cbranch_execz .LBB0_16
; %bb.15:
	v_add_u32_e32 v6, 5, v1
	v_mul_lo_u32 v6, s12, v6
	v_add3_u32 v6, s11, v44, v6
	v_mov_b32_e32 v7, 0
	v_lshl_add_u64 v[6:7], v[6:7], 4, s[4:5]
	global_load_dwordx4 v[10:13], v[6:7], off
.LBB0_16:
	s_or_b64 exec, exec, s[14:15]
	v_mov_b64_e32 v[24:25], 0
	v_mov_b64_e32 v[8:9], v[24:25]
	v_mov_b64_e32 v[6:7], v[24:25]
	s_and_saveexec_b64 s[14:15], s[2:3]
	s_cbranch_execz .LBB0_18
; %bb.17:
	v_add_u32_e32 v6, 10, v1
	v_mul_lo_u32 v6, s12, v6
	v_add3_u32 v6, s11, v44, v6
	v_mov_b32_e32 v7, 0
	v_lshl_add_u64 v[6:7], v[6:7], 4, s[4:5]
	global_load_dwordx4 v[6:9], v[6:7], off
.LBB0_18:
	s_or_b64 exec, exec, s[14:15]
	v_mov_b64_e32 v[22:23], v[24:25]
	s_and_saveexec_b64 s[14:15], s[2:3]
	s_cbranch_execz .LBB0_20
; %bb.19:
	v_add_u32_e32 v14, 15, v1
	v_mul_lo_u32 v14, s12, v14
	v_add3_u32 v14, s11, v44, v14
	v_mov_b32_e32 v15, 0
	v_lshl_add_u64 v[14:15], v[14:15], 4, s[4:5]
	global_load_dwordx4 v[22:25], v[14:15], off
.LBB0_20:
	s_or_b64 exec, exec, s[14:15]
	v_mov_b64_e32 v[16:17], 0
	v_mov_b64_e32 v[20:21], v[16:17]
	v_mov_b64_e32 v[18:19], v[16:17]
	s_and_saveexec_b64 s[14:15], s[2:3]
	s_cbranch_execz .LBB0_22
; %bb.21:
	v_add_u32_e32 v14, 20, v1
	v_mul_lo_u32 v14, s12, v14
	v_add3_u32 v14, s11, v44, v14
	v_mov_b32_e32 v15, 0
	v_lshl_add_u64 v[14:15], v[14:15], 4, s[4:5]
	global_load_dwordx4 v[18:21], v[14:15], off
.LBB0_22:
	;; [unrolled: 26-line block ×4, first 2 shown]
	s_or_b64 exec, exec, s[14:15]
	v_mov_b64_e32 v[34:35], v[36:37]
	s_and_saveexec_b64 s[14:15], s[2:3]
	s_cbranch_execz .LBB0_32
; %bb.31:
	v_add_u32_e32 v34, 45, v1
	v_mul_lo_u32 v34, s12, v34
	v_add3_u32 v34, s11, v44, v34
	v_mov_b32_e32 v35, 0
	v_lshl_add_u64 v[34:35], v[34:35], 4, s[4:5]
	global_load_dwordx4 v[34:37], v[34:35], off
.LBB0_32:
	s_or_b64 exec, exec, s[14:15]
	s_movk_i32 s2, 0x7d
	v_cmp_gt_u32_e64 s[2:3], s2, v0
	v_lshlrev_b32_e32 v43, 4, v42
	s_and_saveexec_b64 s[4:5], s[2:3]
	s_cbranch_execz .LBB0_34
; %bb.33:
	s_waitcnt vmcnt(0)
	v_add_f64 v[44:45], v[8:9], -v[20:21]
	v_add_f64 v[46:47], v[40:41], -v[32:33]
	v_add_f64 v[48:49], v[44:45], v[46:47]
	v_add_f64 v[44:45], v[22:23], -v[14:15]
	v_add_f64 v[46:47], v[34:35], -v[26:27]
	v_add_f64 v[50:51], v[44:45], v[46:47]
	;; [unrolled: 3-line block ×3, first 2 shown]
	v_add_f64 v[46:47], v[16:17], v[28:29]
	v_add_f64 v[60:61], v[24:25], v[36:37]
	v_fma_f64 v[46:47], -0.5, v[46:47], v[12:13]
	v_fma_f64 v[60:61], -0.5, v[60:61], v[12:13]
	v_add_f64 v[12:13], v[12:13], v[24:25]
	v_add_f64 v[62:63], v[24:25], -v[36:37]
	v_add_f64 v[24:25], v[16:17], -v[24:25]
	;; [unrolled: 1-line block ×3, first 2 shown]
	v_add_f64 v[24:25], v[24:25], v[64:65]
	s_mov_b32 s18, 0x134454ff
	v_add_f64 v[64:65], v[8:9], v[40:41]
	v_add_f64 v[54:55], v[20:21], -v[8:9]
	v_add_f64 v[56:57], v[32:33], -v[40:41]
	s_mov_b32 s19, 0xbfee6f0e
	s_mov_b32 s2, 0x4755a5e
	;; [unrolled: 1-line block ×4, first 2 shown]
	v_fma_f64 v[64:65], -0.5, v[64:65], v[4:5]
	v_add_f64 v[68:69], v[18:19], -v[30:31]
	v_add_f64 v[54:55], v[54:55], v[56:57]
	v_add_f64 v[56:57], v[14:15], -v[22:23]
	v_add_f64 v[58:59], v[26:27], -v[34:35]
	s_mov_b32 s3, 0xbfe2cf23
	s_mov_b32 s12, 0x372fe950
	;; [unrolled: 1-line block ×4, first 2 shown]
	v_add_f64 v[66:67], v[6:7], -v[38:39]
	v_fma_f64 v[70:71], s[24:25], v[68:69], v[64:65]
	v_fmac_f64_e32 v[64:65], s[18:19], v[68:69]
	v_add_f64 v[56:57], v[56:57], v[58:59]
	v_add_f64 v[58:59], v[22:23], v[34:35]
	s_mov_b32 s13, 0x3fd3c6ef
	v_fmac_f64_e32 v[70:71], s[2:3], v[66:67]
	v_fmac_f64_e32 v[64:65], s[14:15], v[66:67]
	v_fma_f64 v[58:59], -0.5, v[58:59], v[10:11]
	v_fmac_f64_e32 v[70:71], s[12:13], v[54:55]
	v_fmac_f64_e32 v[64:65], s[12:13], v[54:55]
	v_add_f64 v[54:55], v[16:17], -v[28:29]
	v_fma_f64 v[72:73], s[18:19], v[54:55], v[58:59]
	v_fmac_f64_e32 v[58:59], s[24:25], v[54:55]
	v_fmac_f64_e32 v[72:73], s[14:15], v[62:63]
	;; [unrolled: 1-line block ×3, first 2 shown]
	v_add_f64 v[44:45], v[14:15], v[26:27]
	v_fmac_f64_e32 v[72:73], s[12:13], v[56:57]
	v_fmac_f64_e32 v[58:59], s[12:13], v[56:57]
	v_add_f64 v[56:57], v[14:15], -v[26:27]
	v_fma_f64 v[44:45], -0.5, v[44:45], v[10:11]
	v_add_f64 v[10:11], v[10:11], v[22:23]
	v_add_f64 v[22:23], v[22:23], -v[34:35]
	v_fma_f64 v[74:75], s[24:25], v[56:57], v[60:61]
	v_fmac_f64_e32 v[60:61], s[18:19], v[56:57]
	v_fmac_f64_e32 v[74:75], s[2:3], v[22:23]
	;; [unrolled: 1-line block ×5, first 2 shown]
	v_add_f64 v[24:25], v[20:21], v[32:33]
	v_fma_f64 v[76:77], -0.5, v[24:25], v[4:5]
	v_fma_f64 v[24:25], s[18:19], v[66:67], v[76:77]
	v_fmac_f64_e32 v[76:77], s[24:25], v[66:67]
	v_fmac_f64_e32 v[24:25], s[2:3], v[68:69]
	v_fmac_f64_e32 v[76:77], s[14:15], v[68:69]
	v_fmac_f64_e32 v[24:25], s[12:13], v[48:49]
	v_fmac_f64_e32 v[76:77], s[12:13], v[48:49]
	v_fma_f64 v[48:49], s[24:25], v[62:63], v[44:45]
	v_fmac_f64_e32 v[44:45], s[18:19], v[62:63]
	v_fmac_f64_e32 v[48:49], s[14:15], v[54:55]
	v_fmac_f64_e32 v[44:45], s[2:3], v[54:55]
	v_fmac_f64_e32 v[48:49], s[12:13], v[50:51]
	v_fmac_f64_e32 v[44:45], s[12:13], v[50:51]
	;; [unrolled: 6-line block ×3, first 2 shown]
	v_add_f64 v[22:23], v[6:7], -v[18:19]
	v_add_f64 v[52:53], v[38:39], -v[30:31]
	v_add_f64 v[22:23], v[22:23], v[52:53]
	v_add_f64 v[52:53], v[18:19], v[30:31]
	;; [unrolled: 1-line block ×3, first 2 shown]
	v_fma_f64 v[52:53], -0.5, v[52:53], v[2:3]
	v_fma_f64 v[54:55], -0.5, v[54:55], v[2:3]
	v_add_f64 v[2:3], v[2:3], v[6:7]
	s_mov_b32 s26, 0x9b97f4a8
	v_add_f64 v[4:5], v[4:5], v[8:9]
	v_add_f64 v[6:7], v[18:19], -v[6:7]
	v_add_f64 v[2:3], v[2:3], v[18:19]
	v_add_f64 v[18:19], v[20:21], -v[32:33]
	s_mov_b32 s27, 0xbfe9e377
	v_add_f64 v[8:9], v[8:9], -v[40:41]
	v_add_f64 v[4:5], v[4:5], v[20:21]
	v_mul_f64 v[20:21], v[50:51], s[26:27]
	v_mul_f64 v[50:51], v[50:51], s[2:3]
	v_add_f64 v[2:3], v[2:3], v[30:31]
	v_add_f64 v[30:31], v[30:31], -v[38:39]
	v_fma_f64 v[56:57], s[18:19], v[18:19], v[54:55]
	v_fmac_f64_e32 v[54:55], s[24:25], v[18:19]
	v_add_f64 v[10:11], v[10:11], v[14:15]
	v_fmac_f64_e32 v[50:51], s[26:27], v[48:49]
	v_add_f64 v[4:5], v[4:5], v[32:33]
	v_add_f64 v[6:7], v[6:7], v[30:31]
	v_fmac_f64_e32 v[56:57], s[14:15], v[8:9]
	v_fmac_f64_e32 v[54:55], s[2:3], v[8:9]
	v_mul_f64 v[32:33], v[58:59], s[24:25]
	v_add_f64 v[38:39], v[2:3], v[38:39]
	v_add_f64 v[2:3], v[12:13], v[16:17]
	;; [unrolled: 1-line block ×3, first 2 shown]
	s_mov_b32 s27, 0x3fe9e377
	s_mov_b32 s29, 0xbfd3c6ef
	;; [unrolled: 1-line block ×3, first 2 shown]
	v_fmac_f64_e32 v[56:57], s[12:13], v[6:7]
	v_fmac_f64_e32 v[54:55], s[12:13], v[6:7]
	;; [unrolled: 1-line block ×3, first 2 shown]
	v_mul_f64 v[60:61], v[60:61], s[18:19]
	v_fma_f64 v[6:7], s[24:25], v[8:9], v[52:53]
	v_fmac_f64_e32 v[52:53], s[18:19], v[8:9]
	v_add_f64 v[2:3], v[2:3], v[28:29]
	v_mul_f64 v[26:27], v[46:47], s[26:27]
	v_add_f64 v[62:63], v[10:11], v[34:35]
	v_mul_f64 v[34:35], v[46:47], s[2:3]
	v_fmac_f64_e32 v[20:21], s[14:15], v[48:49]
	v_mul_f64 v[30:31], v[74:75], s[28:29]
	v_mul_f64 v[48:49], v[74:75], s[18:19]
	v_fmac_f64_e32 v[60:61], s[12:13], v[58:59]
	v_fmac_f64_e32 v[6:7], s[14:15], v[18:19]
	;; [unrolled: 1-line block ×3, first 2 shown]
	v_add_f64 v[40:41], v[4:5], v[40:41]
	v_fmac_f64_e32 v[26:27], s[14:15], v[44:45]
	v_add_f64 v[58:59], v[2:3], v[36:37]
	v_fmac_f64_e32 v[34:35], s[26:27], v[44:45]
	v_mul_u32_u24_e32 v44, 0xfa0, v1
	v_fmac_f64_e32 v[30:31], s[24:25], v[72:73]
	v_fmac_f64_e32 v[48:49], s[28:29], v[72:73]
	v_add_f64 v[4:5], v[24:25], -v[20:21]
	v_fmac_f64_e32 v[6:7], s[12:13], v[22:23]
	v_fmac_f64_e32 v[52:53], s[12:13], v[22:23]
	v_add_f64 v[20:21], v[24:25], v[20:21]
	v_add_f64 v[24:25], v[40:41], -v[58:59]
	v_add_f64 v[22:23], v[38:39], -v[62:63]
	v_add_f64 v[40:41], v[40:41], v[58:59]
	v_add_f64 v[38:39], v[38:39], v[62:63]
	v_add3_u32 v44, 0, v44, v43
	v_add_f64 v[8:9], v[70:71], -v[30:31]
	v_add_f64 v[12:13], v[64:65], -v[32:33]
	;; [unrolled: 1-line block ×4, first 2 shown]
	v_add_f64 v[18:19], v[6:7], v[50:51]
	v_add_f64 v[6:7], v[56:57], -v[48:49]
	v_add_f64 v[10:11], v[54:55], -v[60:61]
	;; [unrolled: 1-line block ×3, first 2 shown]
	v_add_f64 v[28:29], v[70:71], v[30:31]
	v_add_f64 v[32:33], v[64:65], v[32:33]
	;; [unrolled: 1-line block ×6, first 2 shown]
	ds_write_b128 v44, v[38:41]
	ds_write_b128 v44, v[34:37] offset:400
	ds_write_b128 v44, v[30:33] offset:800
	;; [unrolled: 1-line block ×9, first 2 shown]
.LBB0_34:
	s_or_b64 exec, exec, s[4:5]
	s_or_b64 s[0:1], vcc, s[0:1]
	s_waitcnt lgkmcnt(0)
	s_barrier
	s_and_saveexec_b64 s[2:3], s[0:1]
	s_cbranch_execz .LBB0_36
; %bb.35:
	s_waitcnt vmcnt(0)
	v_mul_lo_u16_e32 v2, 26, v1
	v_mov_b32_e32 v3, 10
	v_mul_lo_u16_sdwa v2, v2, v3 dst_sel:DWORD dst_unused:UNUSED_PAD src0_sel:BYTE_1 src1_sel:DWORD
	v_sub_u16_e32 v38, v1, v2
	v_mov_b32_e32 v2, 6
	v_lshlrev_b32_sdwa v18, v2, v38 dst_sel:DWORD dst_unused:UNUSED_PAD src0_sel:DWORD src1_sel:BYTE_0
	global_load_dwordx4 v[2:5], v18, s[22:23] offset:16
	global_load_dwordx4 v[6:9], v18, s[22:23]
	global_load_dwordx4 v[10:13], v18, s[22:23] offset:32
	global_load_dwordx4 v[14:17], v18, s[22:23] offset:48
	s_load_dwordx2 s[12:13], s[16:17], 0x0
	s_waitcnt lgkmcnt(0)
	s_movk_i32 s13, 0x107
	v_mul_u32_u24_e32 v1, 0x190, v1
	v_mov_b32_e32 v18, 50
	v_mul_u32_u24_sdwa v0, v0, s13 dst_sel:DWORD dst_unused:UNUSED_PAD src0_sel:WORD_0 src1_sel:DWORD
	v_add3_u32 v1, 0, v1, v43
	v_mul_lo_u16_sdwa v0, v0, v18 dst_sel:DWORD dst_unused:UNUSED_PAD src0_sel:WORD_1 src1_sel:DWORD
	ds_read_b128 v[18:21], v1 offset:8000
	ds_read_b128 v[22:25], v1 offset:12000
	;; [unrolled: 1-line block ×4, first 2 shown]
	ds_read_b128 v[34:37], v1
	v_mul_lo_u32 v54, s10, v42
	v_add_u32_sdwa v55, v38, v0 dst_sel:DWORD dst_unused:UNUSED_PAD src0_sel:BYTE_0 src1_sel:DWORD
	s_mov_b32 s0, 0x134454ff
	s_mov_b32 s1, 0x3fee6f0e
	;; [unrolled: 1-line block ×10, first 2 shown]
	s_mul_i32 s12, s12, s20
	s_add_i32 s12, s12, s9
	s_waitcnt vmcnt(3) lgkmcnt(4)
	v_mul_f64 v[0:1], v[18:19], v[4:5]
	s_waitcnt vmcnt(2) lgkmcnt(1)
	v_mul_f64 v[38:39], v[30:31], v[8:9]
	s_waitcnt vmcnt(1)
	v_mul_f64 v[40:41], v[22:23], v[12:13]
	s_waitcnt vmcnt(0)
	v_mul_f64 v[42:43], v[26:27], v[16:17]
	v_mul_f64 v[44:45], v[20:21], v[4:5]
	;; [unrolled: 1-line block ×5, first 2 shown]
	v_fma_f64 v[20:21], v[20:21], v[2:3], -v[0:1]
	v_fma_f64 v[32:33], v[32:33], v[6:7], -v[38:39]
	;; [unrolled: 1-line block ×4, first 2 shown]
	v_fmac_f64_e32 v[44:45], v[18:19], v[2:3]
	v_fmac_f64_e32 v[48:49], v[30:31], v[6:7]
	;; [unrolled: 1-line block ×3, first 2 shown]
	v_add_f64 v[0:1], v[20:21], -v[32:33]
	v_add_f64 v[2:3], v[24:25], -v[28:29]
	v_add_f64 v[6:7], v[32:33], v[28:29]
	v_add_f64 v[14:15], v[20:21], v[24:25]
	v_fmac_f64_e32 v[46:47], v[22:23], v[10:11]
	v_add_f64 v[12:13], v[48:49], -v[16:17]
	v_add_f64 v[50:51], v[0:1], v[2:3]
	s_waitcnt lgkmcnt(0)
	v_fma_f64 v[2:3], -0.5, v[6:7], v[36:37]
	v_fma_f64 v[6:7], -0.5, v[14:15], v[36:37]
	v_add_f64 v[4:5], v[44:45], -v[46:47]
	v_add_f64 v[8:9], v[32:33], -v[20:21]
	;; [unrolled: 1-line block ×3, first 2 shown]
	v_add_f64 v[30:31], v[48:49], v[16:17]
	v_fma_f64 v[14:15], s[10:11], v[12:13], v[6:7]
	v_fmac_f64_e32 v[6:7], s[0:1], v[12:13]
	v_add_f64 v[38:39], v[20:21], -v[24:25]
	v_add_f64 v[52:53], v[8:9], v[10:11]
	v_fma_f64 v[0:1], -0.5, v[30:31], v[34:35]
	v_fma_f64 v[10:11], s[0:1], v[4:5], v[2:3]
	v_fmac_f64_e32 v[2:3], s[10:11], v[4:5]
	v_fmac_f64_e32 v[14:15], s[2:3], v[4:5]
	;; [unrolled: 1-line block ×3, first 2 shown]
	v_add_f64 v[4:5], v[44:45], v[46:47]
	v_add_f64 v[18:19], v[44:45], -v[48:49]
	v_add_f64 v[22:23], v[46:47], -v[16:17]
	;; [unrolled: 1-line block ×3, first 2 shown]
	v_fma_f64 v[8:9], s[10:11], v[38:39], v[0:1]
	v_fmac_f64_e32 v[0:1], s[0:1], v[38:39]
	v_fma_f64 v[4:5], -0.5, v[4:5], v[34:35]
	v_add_f64 v[40:41], v[48:49], -v[44:45]
	v_add_f64 v[42:43], v[16:17], -v[46:47]
	v_add_f64 v[18:19], v[18:19], v[22:23]
	v_fmac_f64_e32 v[10:11], s[2:3], v[12:13]
	v_fmac_f64_e32 v[2:3], s[14:15], v[12:13]
	;; [unrolled: 1-line block ×4, first 2 shown]
	v_fma_f64 v[12:13], s[0:1], v[26:27], v[4:5]
	v_fmac_f64_e32 v[4:5], s[10:11], v[26:27]
	v_fmac_f64_e32 v[8:9], s[4:5], v[18:19]
	;; [unrolled: 1-line block ×3, first 2 shown]
	v_add_f64 v[18:19], v[40:41], v[42:43]
	v_fmac_f64_e32 v[12:13], s[14:15], v[38:39]
	v_fmac_f64_e32 v[4:5], s[2:3], v[38:39]
	v_fmac_f64_e32 v[12:13], s[4:5], v[18:19]
	v_fmac_f64_e32 v[4:5], s[4:5], v[18:19]
	v_mul_lo_u32 v18, s8, v55
	v_add3_u32 v22, v54, v18, s12
	v_add_f64 v[18:19], v[36:37], v[32:33]
	v_add_f64 v[18:19], v[18:19], v[20:21]
	;; [unrolled: 1-line block ×4, first 2 shown]
	v_mov_b32_e32 v23, 0
	v_add_f64 v[18:19], v[18:19], v[24:25]
	v_add_f64 v[20:21], v[20:21], v[46:47]
	v_lshl_add_u64 v[26:27], v[22:23], 4, s[6:7]
	v_add_f64 v[18:19], v[18:19], v[28:29]
	v_add_f64 v[16:17], v[20:21], v[16:17]
	global_store_dwordx4 v[26:27], v[16:19], off
	v_fmac_f64_e32 v[6:7], s[4:5], v[52:53]
	v_fmac_f64_e32 v[2:3], s[4:5], v[50:51]
	v_add_u32_e32 v16, 10, v55
	v_mul_lo_u32 v16, s8, v16
	v_add3_u32 v22, v54, v16, s12
	v_lshl_add_u64 v[16:17], v[22:23], 4, s[6:7]
	global_store_dwordx4 v[16:17], v[4:7], off
	v_fmac_f64_e32 v[10:11], s[4:5], v[50:51]
	v_fmac_f64_e32 v[14:15], s[4:5], v[52:53]
	v_add_u32_e32 v4, 20, v55
	v_mul_lo_u32 v4, s8, v4
	v_add3_u32 v22, v54, v4, s12
	v_lshl_add_u64 v[4:5], v[22:23], 4, s[6:7]
	global_store_dwordx4 v[4:5], v[0:3], off
	s_nop 1
	v_add_u32_e32 v0, 30, v55
	v_mul_lo_u32 v0, s8, v0
	v_add3_u32 v22, v54, v0, s12
	v_lshl_add_u64 v[0:1], v[22:23], 4, s[6:7]
	global_store_dwordx4 v[0:1], v[8:11], off
	v_add_u32_e32 v0, 40, v55
	v_mul_lo_u32 v0, s8, v0
	v_add3_u32 v22, v54, v0, s12
	v_lshl_add_u64 v[0:1], v[22:23], 4, s[6:7]
	global_store_dwordx4 v[0:1], v[12:15], off
.LBB0_36:
	s_endpgm
	.section	.rodata,"a",@progbits
	.p2align	6, 0x0
	.amdhsa_kernel fft_rtc_back_len50_factors_10_5_wgs_250_tpt_10_dp_op_CI_CI_sbcc_dirReg_intrinsicReadWrite
		.amdhsa_group_segment_fixed_size 0
		.amdhsa_private_segment_fixed_size 0
		.amdhsa_kernarg_size 112
		.amdhsa_user_sgpr_count 2
		.amdhsa_user_sgpr_dispatch_ptr 0
		.amdhsa_user_sgpr_queue_ptr 0
		.amdhsa_user_sgpr_kernarg_segment_ptr 1
		.amdhsa_user_sgpr_dispatch_id 0
		.amdhsa_user_sgpr_kernarg_preload_length 0
		.amdhsa_user_sgpr_kernarg_preload_offset 0
		.amdhsa_user_sgpr_private_segment_size 0
		.amdhsa_uses_dynamic_stack 0
		.amdhsa_enable_private_segment 0
		.amdhsa_system_sgpr_workgroup_id_x 1
		.amdhsa_system_sgpr_workgroup_id_y 0
		.amdhsa_system_sgpr_workgroup_id_z 0
		.amdhsa_system_sgpr_workgroup_info 0
		.amdhsa_system_vgpr_workitem_id 0
		.amdhsa_next_free_vgpr 78
		.amdhsa_next_free_sgpr 51
		.amdhsa_accum_offset 80
		.amdhsa_reserve_vcc 1
		.amdhsa_float_round_mode_32 0
		.amdhsa_float_round_mode_16_64 0
		.amdhsa_float_denorm_mode_32 3
		.amdhsa_float_denorm_mode_16_64 3
		.amdhsa_dx10_clamp 1
		.amdhsa_ieee_mode 1
		.amdhsa_fp16_overflow 0
		.amdhsa_tg_split 0
		.amdhsa_exception_fp_ieee_invalid_op 0
		.amdhsa_exception_fp_denorm_src 0
		.amdhsa_exception_fp_ieee_div_zero 0
		.amdhsa_exception_fp_ieee_overflow 0
		.amdhsa_exception_fp_ieee_underflow 0
		.amdhsa_exception_fp_ieee_inexact 0
		.amdhsa_exception_int_div_zero 0
	.end_amdhsa_kernel
	.text
.Lfunc_end0:
	.size	fft_rtc_back_len50_factors_10_5_wgs_250_tpt_10_dp_op_CI_CI_sbcc_dirReg_intrinsicReadWrite, .Lfunc_end0-fft_rtc_back_len50_factors_10_5_wgs_250_tpt_10_dp_op_CI_CI_sbcc_dirReg_intrinsicReadWrite
                                        ; -- End function
	.section	.AMDGPU.csdata,"",@progbits
; Kernel info:
; codeLenInByte = 4536
; NumSgprs: 57
; NumVgprs: 78
; NumAgprs: 0
; TotalNumVgprs: 78
; ScratchSize: 0
; MemoryBound: 0
; FloatMode: 240
; IeeeMode: 1
; LDSByteSize: 0 bytes/workgroup (compile time only)
; SGPRBlocks: 7
; VGPRBlocks: 9
; NumSGPRsForWavesPerEU: 57
; NumVGPRsForWavesPerEU: 78
; AccumOffset: 80
; Occupancy: 6
; WaveLimiterHint : 1
; COMPUTE_PGM_RSRC2:SCRATCH_EN: 0
; COMPUTE_PGM_RSRC2:USER_SGPR: 2
; COMPUTE_PGM_RSRC2:TRAP_HANDLER: 0
; COMPUTE_PGM_RSRC2:TGID_X_EN: 1
; COMPUTE_PGM_RSRC2:TGID_Y_EN: 0
; COMPUTE_PGM_RSRC2:TGID_Z_EN: 0
; COMPUTE_PGM_RSRC2:TIDIG_COMP_CNT: 0
; COMPUTE_PGM_RSRC3_GFX90A:ACCUM_OFFSET: 19
; COMPUTE_PGM_RSRC3_GFX90A:TG_SPLIT: 0
	.text
	.p2alignl 6, 3212836864
	.fill 256, 4, 3212836864
	.type	__hip_cuid_ec64c1a247b56708,@object ; @__hip_cuid_ec64c1a247b56708
	.section	.bss,"aw",@nobits
	.globl	__hip_cuid_ec64c1a247b56708
__hip_cuid_ec64c1a247b56708:
	.byte	0                               ; 0x0
	.size	__hip_cuid_ec64c1a247b56708, 1

	.ident	"AMD clang version 19.0.0git (https://github.com/RadeonOpenCompute/llvm-project roc-6.4.0 25133 c7fe45cf4b819c5991fe208aaa96edf142730f1d)"
	.section	".note.GNU-stack","",@progbits
	.addrsig
	.addrsig_sym __hip_cuid_ec64c1a247b56708
	.amdgpu_metadata
---
amdhsa.kernels:
  - .agpr_count:     0
    .args:
      - .actual_access:  read_only
        .address_space:  global
        .offset:         0
        .size:           8
        .value_kind:     global_buffer
      - .address_space:  global
        .offset:         8
        .size:           8
        .value_kind:     global_buffer
      - .offset:         16
        .size:           8
        .value_kind:     by_value
      - .actual_access:  read_only
        .address_space:  global
        .offset:         24
        .size:           8
        .value_kind:     global_buffer
      - .actual_access:  read_only
        .address_space:  global
        .offset:         32
        .size:           8
        .value_kind:     global_buffer
      - .actual_access:  read_only
        .address_space:  global
        .offset:         40
        .size:           8
        .value_kind:     global_buffer
      - .offset:         48
        .size:           8
        .value_kind:     by_value
      - .actual_access:  read_only
        .address_space:  global
        .offset:         56
        .size:           8
        .value_kind:     global_buffer
      - .actual_access:  read_only
        .address_space:  global
        .offset:         64
        .size:           8
        .value_kind:     global_buffer
      - .offset:         72
        .size:           4
        .value_kind:     by_value
      - .actual_access:  read_only
        .address_space:  global
        .offset:         80
        .size:           8
        .value_kind:     global_buffer
      - .actual_access:  read_only
        .address_space:  global
        .offset:         88
        .size:           8
        .value_kind:     global_buffer
      - .actual_access:  read_only
        .address_space:  global
        .offset:         96
        .size:           8
        .value_kind:     global_buffer
      - .actual_access:  write_only
        .address_space:  global
        .offset:         104
        .size:           8
        .value_kind:     global_buffer
    .group_segment_fixed_size: 0
    .kernarg_segment_align: 8
    .kernarg_segment_size: 112
    .language:       OpenCL C
    .language_version:
      - 2
      - 0
    .max_flat_workgroup_size: 250
    .name:           fft_rtc_back_len50_factors_10_5_wgs_250_tpt_10_dp_op_CI_CI_sbcc_dirReg_intrinsicReadWrite
    .private_segment_fixed_size: 0
    .sgpr_count:     57
    .sgpr_spill_count: 0
    .symbol:         fft_rtc_back_len50_factors_10_5_wgs_250_tpt_10_dp_op_CI_CI_sbcc_dirReg_intrinsicReadWrite.kd
    .uniform_work_group_size: 1
    .uses_dynamic_stack: false
    .vgpr_count:     78
    .vgpr_spill_count: 0
    .wavefront_size: 64
amdhsa.target:   amdgcn-amd-amdhsa--gfx950
amdhsa.version:
  - 1
  - 2
...

	.end_amdgpu_metadata
